;; amdgpu-corpus repo=ROCm/rocFFT kind=compiled arch=gfx906 opt=O3
	.text
	.amdgcn_target "amdgcn-amd-amdhsa--gfx906"
	.amdhsa_code_object_version 6
	.protected	fft_rtc_fwd_len338_factors_13_2_13_wgs_52_tpt_26_halfLds_half_op_CI_CI_sbrr_dirReg ; -- Begin function fft_rtc_fwd_len338_factors_13_2_13_wgs_52_tpt_26_halfLds_half_op_CI_CI_sbrr_dirReg
	.globl	fft_rtc_fwd_len338_factors_13_2_13_wgs_52_tpt_26_halfLds_half_op_CI_CI_sbrr_dirReg
	.p2align	8
	.type	fft_rtc_fwd_len338_factors_13_2_13_wgs_52_tpt_26_halfLds_half_op_CI_CI_sbrr_dirReg,@function
fft_rtc_fwd_len338_factors_13_2_13_wgs_52_tpt_26_halfLds_half_op_CI_CI_sbrr_dirReg: ; @fft_rtc_fwd_len338_factors_13_2_13_wgs_52_tpt_26_halfLds_half_op_CI_CI_sbrr_dirReg
; %bb.0:
	s_load_dwordx4 s[16:19], s[4:5], 0x18
	s_load_dwordx4 s[12:15], s[4:5], 0x0
	;; [unrolled: 1-line block ×3, first 2 shown]
	v_mul_u32_u24_e32 v1, 0x9d9, v0
	v_lshrrev_b32_e32 v11, 16, v1
	s_waitcnt lgkmcnt(0)
	s_load_dwordx2 s[2:3], s[16:17], 0x0
	s_load_dwordx2 s[20:21], s[18:19], 0x0
	v_cmp_lt_u64_e64 s[0:1], s[14:15], 2
	v_mov_b32_e32 v7, 0
	v_mov_b32_e32 v5, 0
	v_lshl_add_u32 v9, s6, 1, v11
	v_mov_b32_e32 v10, v7
	s_and_b64 vcc, exec, s[0:1]
	v_mov_b32_e32 v6, 0
	s_cbranch_vccnz .LBB0_8
; %bb.1:
	s_load_dwordx2 s[0:1], s[4:5], 0x10
	s_add_u32 s6, s18, 8
	s_addc_u32 s7, s19, 0
	s_add_u32 s22, s16, 8
	s_addc_u32 s23, s17, 0
	v_mov_b32_e32 v5, 0
	s_waitcnt lgkmcnt(0)
	s_add_u32 s24, s0, 8
	v_mov_b32_e32 v6, 0
	v_mov_b32_e32 v1, v5
	s_addc_u32 s25, s1, 0
	s_mov_b64 s[26:27], 1
	v_mov_b32_e32 v2, v6
.LBB0_2:                                ; =>This Inner Loop Header: Depth=1
	s_load_dwordx2 s[28:29], s[24:25], 0x0
                                        ; implicit-def: $vgpr3_vgpr4
	s_waitcnt lgkmcnt(0)
	v_or_b32_e32 v8, s29, v10
	v_cmp_ne_u64_e32 vcc, 0, v[7:8]
	s_and_saveexec_b64 s[0:1], vcc
	s_xor_b64 s[30:31], exec, s[0:1]
	s_cbranch_execz .LBB0_4
; %bb.3:                                ;   in Loop: Header=BB0_2 Depth=1
	v_cvt_f32_u32_e32 v3, s28
	v_cvt_f32_u32_e32 v4, s29
	s_sub_u32 s0, 0, s28
	s_subb_u32 s1, 0, s29
	v_mac_f32_e32 v3, 0x4f800000, v4
	v_rcp_f32_e32 v3, v3
	v_mul_f32_e32 v3, 0x5f7ffffc, v3
	v_mul_f32_e32 v4, 0x2f800000, v3
	v_trunc_f32_e32 v4, v4
	v_mac_f32_e32 v3, 0xcf800000, v4
	v_cvt_u32_f32_e32 v4, v4
	v_cvt_u32_f32_e32 v3, v3
	v_mul_lo_u32 v8, s0, v4
	v_mul_hi_u32 v12, s0, v3
	v_mul_lo_u32 v14, s1, v3
	v_mul_lo_u32 v13, s0, v3
	v_add_u32_e32 v8, v12, v8
	v_add_u32_e32 v8, v8, v14
	v_mul_hi_u32 v12, v3, v13
	v_mul_lo_u32 v14, v3, v8
	v_mul_hi_u32 v16, v3, v8
	v_mul_hi_u32 v15, v4, v13
	v_mul_lo_u32 v13, v4, v13
	v_mul_hi_u32 v17, v4, v8
	v_add_co_u32_e32 v12, vcc, v12, v14
	v_addc_co_u32_e32 v14, vcc, 0, v16, vcc
	v_mul_lo_u32 v8, v4, v8
	v_add_co_u32_e32 v12, vcc, v12, v13
	v_addc_co_u32_e32 v12, vcc, v14, v15, vcc
	v_addc_co_u32_e32 v13, vcc, 0, v17, vcc
	v_add_co_u32_e32 v8, vcc, v12, v8
	v_addc_co_u32_e32 v12, vcc, 0, v13, vcc
	v_add_co_u32_e32 v3, vcc, v3, v8
	v_addc_co_u32_e32 v4, vcc, v4, v12, vcc
	v_mul_lo_u32 v8, s0, v4
	v_mul_hi_u32 v12, s0, v3
	v_mul_lo_u32 v13, s1, v3
	v_mul_lo_u32 v14, s0, v3
	v_add_u32_e32 v8, v12, v8
	v_add_u32_e32 v8, v8, v13
	v_mul_lo_u32 v15, v3, v8
	v_mul_hi_u32 v16, v3, v14
	v_mul_hi_u32 v17, v3, v8
	;; [unrolled: 1-line block ×3, first 2 shown]
	v_mul_lo_u32 v14, v4, v14
	v_mul_hi_u32 v12, v4, v8
	v_add_co_u32_e32 v15, vcc, v16, v15
	v_addc_co_u32_e32 v16, vcc, 0, v17, vcc
	v_mul_lo_u32 v8, v4, v8
	v_add_co_u32_e32 v14, vcc, v15, v14
	v_addc_co_u32_e32 v13, vcc, v16, v13, vcc
	v_addc_co_u32_e32 v12, vcc, 0, v12, vcc
	v_add_co_u32_e32 v8, vcc, v13, v8
	v_addc_co_u32_e32 v12, vcc, 0, v12, vcc
	v_add_co_u32_e32 v8, vcc, v3, v8
	v_addc_co_u32_e32 v12, vcc, v4, v12, vcc
	v_mad_u64_u32 v[3:4], s[0:1], v9, v12, 0
	v_mul_hi_u32 v13, v9, v8
	v_add_co_u32_e32 v14, vcc, v13, v3
	v_addc_co_u32_e32 v15, vcc, 0, v4, vcc
	v_mad_u64_u32 v[3:4], s[0:1], v10, v8, 0
	v_mad_u64_u32 v[12:13], s[0:1], v10, v12, 0
	v_add_co_u32_e32 v3, vcc, v14, v3
	v_addc_co_u32_e32 v3, vcc, v15, v4, vcc
	v_addc_co_u32_e32 v4, vcc, 0, v13, vcc
	v_add_co_u32_e32 v8, vcc, v3, v12
	v_addc_co_u32_e32 v12, vcc, 0, v4, vcc
	v_mul_lo_u32 v13, s29, v8
	v_mul_lo_u32 v14, s28, v12
	v_mad_u64_u32 v[3:4], s[0:1], s28, v8, 0
	v_add3_u32 v4, v4, v14, v13
	v_sub_u32_e32 v13, v10, v4
	v_mov_b32_e32 v14, s29
	v_sub_co_u32_e32 v3, vcc, v9, v3
	v_subb_co_u32_e64 v13, s[0:1], v13, v14, vcc
	v_subrev_co_u32_e64 v14, s[0:1], s28, v3
	v_subbrev_co_u32_e64 v13, s[0:1], 0, v13, s[0:1]
	v_cmp_le_u32_e64 s[0:1], s29, v13
	v_cndmask_b32_e64 v15, 0, -1, s[0:1]
	v_cmp_le_u32_e64 s[0:1], s28, v14
	v_cndmask_b32_e64 v14, 0, -1, s[0:1]
	v_cmp_eq_u32_e64 s[0:1], s29, v13
	v_cndmask_b32_e64 v13, v15, v14, s[0:1]
	v_add_co_u32_e64 v14, s[0:1], 2, v8
	v_addc_co_u32_e64 v15, s[0:1], 0, v12, s[0:1]
	v_add_co_u32_e64 v16, s[0:1], 1, v8
	v_addc_co_u32_e64 v17, s[0:1], 0, v12, s[0:1]
	v_subb_co_u32_e32 v4, vcc, v10, v4, vcc
	v_cmp_ne_u32_e64 s[0:1], 0, v13
	v_cmp_le_u32_e32 vcc, s29, v4
	v_cndmask_b32_e64 v13, v17, v15, s[0:1]
	v_cndmask_b32_e64 v15, 0, -1, vcc
	v_cmp_le_u32_e32 vcc, s28, v3
	v_cndmask_b32_e64 v3, 0, -1, vcc
	v_cmp_eq_u32_e32 vcc, s29, v4
	v_cndmask_b32_e32 v3, v15, v3, vcc
	v_cmp_ne_u32_e32 vcc, 0, v3
	v_cndmask_b32_e64 v3, v16, v14, s[0:1]
	v_cndmask_b32_e32 v4, v12, v13, vcc
	v_cndmask_b32_e32 v3, v8, v3, vcc
.LBB0_4:                                ;   in Loop: Header=BB0_2 Depth=1
	s_andn2_saveexec_b64 s[0:1], s[30:31]
	s_cbranch_execz .LBB0_6
; %bb.5:                                ;   in Loop: Header=BB0_2 Depth=1
	v_cvt_f32_u32_e32 v3, s28
	s_sub_i32 s30, 0, s28
	v_rcp_iflag_f32_e32 v3, v3
	v_mul_f32_e32 v3, 0x4f7ffffe, v3
	v_cvt_u32_f32_e32 v3, v3
	v_mul_lo_u32 v4, s30, v3
	v_mul_hi_u32 v4, v3, v4
	v_add_u32_e32 v3, v3, v4
	v_mul_hi_u32 v3, v9, v3
	v_mul_lo_u32 v4, v3, s28
	v_add_u32_e32 v8, 1, v3
	v_sub_u32_e32 v4, v9, v4
	v_subrev_u32_e32 v12, s28, v4
	v_cmp_le_u32_e32 vcc, s28, v4
	v_cndmask_b32_e32 v4, v4, v12, vcc
	v_cndmask_b32_e32 v3, v3, v8, vcc
	v_add_u32_e32 v8, 1, v3
	v_cmp_le_u32_e32 vcc, s28, v4
	v_cndmask_b32_e32 v3, v3, v8, vcc
	v_mov_b32_e32 v4, v7
.LBB0_6:                                ;   in Loop: Header=BB0_2 Depth=1
	s_or_b64 exec, exec, s[0:1]
	v_mul_lo_u32 v8, v4, s28
	v_mul_lo_u32 v14, v3, s29
	v_mad_u64_u32 v[12:13], s[0:1], v3, s28, 0
	s_load_dwordx2 s[0:1], s[22:23], 0x0
	s_load_dwordx2 s[28:29], s[6:7], 0x0
	v_add3_u32 v8, v13, v14, v8
	v_sub_co_u32_e32 v9, vcc, v9, v12
	v_subb_co_u32_e32 v8, vcc, v10, v8, vcc
	s_waitcnt lgkmcnt(0)
	v_mul_lo_u32 v10, s0, v8
	v_mul_lo_u32 v12, s1, v9
	v_mad_u64_u32 v[5:6], s[0:1], s0, v9, v[5:6]
	v_mul_lo_u32 v8, s28, v8
	v_mul_lo_u32 v13, s29, v9
	v_mad_u64_u32 v[1:2], s[0:1], s28, v9, v[1:2]
	s_add_u32 s26, s26, 1
	s_addc_u32 s27, s27, 0
	s_add_u32 s6, s6, 8
	v_add3_u32 v2, v13, v2, v8
	s_addc_u32 s7, s7, 0
	v_mov_b32_e32 v8, s14
	s_add_u32 s22, s22, 8
	v_mov_b32_e32 v9, s15
	s_addc_u32 s23, s23, 0
	v_cmp_ge_u64_e32 vcc, s[26:27], v[8:9]
	s_add_u32 s24, s24, 8
	v_add3_u32 v6, v12, v6, v10
	s_addc_u32 s25, s25, 0
	s_cbranch_vccnz .LBB0_9
; %bb.7:                                ;   in Loop: Header=BB0_2 Depth=1
	v_mov_b32_e32 v10, v4
	v_mov_b32_e32 v9, v3
	s_branch .LBB0_2
.LBB0_8:
	v_mov_b32_e32 v1, v5
	v_mov_b32_e32 v3, v9
	;; [unrolled: 1-line block ×4, first 2 shown]
.LBB0_9:
	s_load_dwordx2 s[0:1], s[4:5], 0x28
	s_lshl_b64 s[14:15], s[14:15], 3
	s_add_u32 s4, s18, s14
	s_addc_u32 s5, s19, s15
                                        ; implicit-def: $sgpr18
                                        ; implicit-def: $vgpr8
                                        ; implicit-def: $vgpr9
                                        ; implicit-def: $vgpr10
                                        ; implicit-def: $vgpr12
                                        ; implicit-def: $vgpr13
                                        ; implicit-def: $vgpr14
                                        ; implicit-def: $vgpr15
	s_waitcnt lgkmcnt(0)
	v_cmp_gt_u64_e32 vcc, s[0:1], v[3:4]
	v_cmp_le_u64_e64 s[0:1], s[0:1], v[3:4]
	s_and_saveexec_b64 s[6:7], s[0:1]
	s_xor_b64 s[0:1], exec, s[6:7]
; %bb.10:
	s_mov_b32 s6, 0x9d89d8a
	v_mul_hi_u32 v5, v0, s6
	s_mov_b32 s18, 0
	v_mul_u32_u24_e32 v5, 26, v5
	v_sub_u32_e32 v8, v0, v5
	v_add_u32_e32 v9, 26, v8
	v_add_u32_e32 v10, 52, v8
	;; [unrolled: 1-line block ×6, first 2 shown]
                                        ; implicit-def: $vgpr0
                                        ; implicit-def: $vgpr5_vgpr6
; %bb.11:
	s_or_saveexec_b64 s[6:7], s[0:1]
	v_mov_b32_e32 v7, s18
	v_mov_b32_e32 v27, s18
                                        ; implicit-def: $vgpr32
                                        ; implicit-def: $vgpr20
                                        ; implicit-def: $vgpr33
                                        ; implicit-def: $vgpr21
                                        ; implicit-def: $vgpr34
                                        ; implicit-def: $vgpr22
                                        ; implicit-def: $vgpr35
                                        ; implicit-def: $vgpr23
                                        ; implicit-def: $vgpr36
                                        ; implicit-def: $vgpr24
                                        ; implicit-def: $vgpr37
                                        ; implicit-def: $vgpr25
                                        ; implicit-def: $vgpr39
                                        ; implicit-def: $vgpr26
                                        ; implicit-def: $vgpr41
                                        ; implicit-def: $vgpr30
                                        ; implicit-def: $vgpr43
                                        ; implicit-def: $vgpr31
                                        ; implicit-def: $vgpr45
                                        ; implicit-def: $vgpr40
                                        ; implicit-def: $vgpr52
                                        ; implicit-def: $vgpr42
                                        ; implicit-def: $vgpr53
                                        ; implicit-def: $vgpr44
	s_xor_b64 exec, exec, s[6:7]
	s_cbranch_execz .LBB0_13
; %bb.12:
	s_add_u32 s0, s16, s14
	s_addc_u32 s1, s17, s15
	s_mov_b32 s14, 0x9d89d8a
	v_mul_hi_u32 v7, v0, s14
	s_load_dwordx2 s[0:1], s[0:1], 0x0
	v_lshlrev_b64 v[5:6], 2, v[5:6]
	v_mul_u32_u24_e32 v7, 26, v7
	v_sub_u32_e32 v8, v0, v7
	s_waitcnt lgkmcnt(0)
	v_mul_lo_u32 v7, s1, v3
	v_mul_lo_u32 v15, s0, v4
	v_mad_u64_u32 v[9:10], s[0:1], s0, v3, 0
	v_mad_u64_u32 v[12:13], s[14:15], s2, v8, 0
	v_add3_u32 v10, v10, v15, v7
	v_lshlrev_b64 v[9:10], 2, v[9:10]
	v_mov_b32_e32 v0, v13
	v_mad_u64_u32 v[13:14], s[0:1], s3, v8, v[0:1]
	v_mov_b32_e32 v0, s9
	v_add_co_u32_e64 v7, s[0:1], s8, v9
	v_add_u32_e32 v9, 26, v8
	v_addc_co_u32_e64 v0, s[0:1], v0, v10, s[0:1]
	v_mad_u64_u32 v[14:15], s[0:1], s2, v9, 0
	v_add_co_u32_e64 v43, s[0:1], v7, v5
	v_addc_co_u32_e64 v45, s[0:1], v0, v6, s[0:1]
	v_mov_b32_e32 v0, v15
	v_mad_u64_u32 v[5:6], s[0:1], s3, v9, v[0:1]
	v_add_u32_e32 v10, 52, v8
	v_mad_u64_u32 v[6:7], s[0:1], s2, v10, 0
	v_lshlrev_b64 v[16:17], 2, v[12:13]
	v_add_u32_e32 v12, 0x4e, v8
	v_mov_b32_e32 v0, v7
	v_mad_u64_u32 v[18:19], s[0:1], s3, v10, v[0:1]
	v_mov_b32_e32 v15, v5
	v_mad_u64_u32 v[19:20], s[0:1], s2, v12, 0
	v_lshlrev_b64 v[13:14], 2, v[14:15]
	v_mov_b32_e32 v7, v18
	v_add_co_u32_e64 v27, s[0:1], v43, v13
	v_add_u32_e32 v13, 0x68, v8
	v_addc_co_u32_e64 v28, s[0:1], v45, v14, s[0:1]
	v_mov_b32_e32 v0, v20
	v_mad_u64_u32 v[21:22], s[0:1], s2, v13, 0
	v_mad_u64_u32 v[14:15], s[0:1], s3, v12, v[0:1]
	v_lshlrev_b64 v[5:6], 2, v[6:7]
	v_mov_b32_e32 v0, v22
	v_add_co_u32_e64 v5, s[0:1], v43, v5
	v_addc_co_u32_e64 v6, s[0:1], v45, v6, s[0:1]
	v_mov_b32_e32 v20, v14
	v_mad_u64_u32 v[22:23], s[0:1], s3, v13, v[0:1]
	v_add_u32_e32 v14, 0x82, v8
	v_mad_u64_u32 v[23:24], s[0:1], s2, v14, 0
	v_lshlrev_b64 v[18:19], 2, v[19:20]
	v_add_u32_e32 v15, 0x9c, v8
	v_add_co_u32_e64 v18, s[0:1], v43, v18
	v_mov_b32_e32 v0, v24
	v_addc_co_u32_e64 v19, s[0:1], v45, v19, s[0:1]
	v_mad_u64_u32 v[24:25], s[0:1], s3, v14, v[0:1]
	v_mad_u64_u32 v[25:26], s[0:1], s2, v15, 0
	v_lshlrev_b64 v[20:21], 2, v[21:22]
	v_add_u32_e32 v7, 0xb6, v8
	v_add_co_u32_e64 v29, s[0:1], v43, v20
	v_mov_b32_e32 v0, v26
	v_addc_co_u32_e64 v30, s[0:1], v45, v21, s[0:1]
	v_lshlrev_b64 v[20:21], 2, v[23:24]
	v_mad_u64_u32 v[22:23], s[0:1], s3, v15, v[0:1]
	v_mad_u64_u32 v[23:24], s[0:1], s2, v7, 0
	v_add_co_u32_e64 v31, s[0:1], v43, v20
	v_mov_b32_e32 v26, v22
	v_addc_co_u32_e64 v32, s[0:1], v45, v21, s[0:1]
	v_lshlrev_b64 v[20:21], 2, v[25:26]
	v_mov_b32_e32 v0, v24
	v_mad_u64_u32 v[24:25], s[0:1], s3, v7, v[0:1]
	v_add_co_u32_e64 v33, s[0:1], v43, v20
	v_add_u32_e32 v7, 0xd0, v8
	v_addc_co_u32_e64 v34, s[0:1], v45, v21, s[0:1]
	v_mad_u64_u32 v[35:36], s[0:1], s2, v7, 0
	v_lshlrev_b64 v[20:21], 2, v[23:24]
	v_add_co_u32_e64 v37, s[0:1], v43, v20
	v_mov_b32_e32 v0, v36
	v_addc_co_u32_e64 v38, s[0:1], v45, v21, s[0:1]
	v_mad_u64_u32 v[39:40], s[0:1], s3, v7, v[0:1]
	v_add_u32_e32 v7, 0xea, v8
	v_mad_u64_u32 v[40:41], s[0:1], s2, v7, 0
	global_load_dword v20, v[27:28], off
	global_load_dword v21, v[5:6], off
	;; [unrolled: 1-line block ×7, first 2 shown]
	v_mov_b32_e32 v36, v39
	v_mov_b32_e32 v0, v41
	v_mad_u64_u32 v[18:19], s[0:1], s3, v7, v[0:1]
	v_add_u32_e32 v7, 0x104, v8
	v_mad_u64_u32 v[27:28], s[0:1], s2, v7, 0
	v_lshlrev_b64 v[5:6], 2, v[35:36]
	v_mov_b32_e32 v41, v18
	v_add_co_u32_e64 v5, s[0:1], v43, v5
	v_mov_b32_e32 v0, v28
	v_addc_co_u32_e64 v6, s[0:1], v45, v6, s[0:1]
	v_mad_u64_u32 v[28:29], s[0:1], s3, v7, v[0:1]
	v_add_u32_e32 v7, 0x11e, v8
	v_mad_u64_u32 v[29:30], s[0:1], s2, v7, 0
	v_lshlrev_b64 v[18:19], 2, v[40:41]
	v_lshlrev_b64 v[27:28], 2, v[27:28]
	v_add_co_u32_e64 v18, s[0:1], v43, v18
	v_mov_b32_e32 v0, v30
	v_addc_co_u32_e64 v19, s[0:1], v45, v19, s[0:1]
	v_mad_u64_u32 v[30:31], s[0:1], s3, v7, v[0:1]
	v_add_u32_e32 v7, 0x138, v8
	v_mad_u64_u32 v[31:32], s[0:1], s2, v7, 0
	v_add_co_u32_e64 v27, s[0:1], v43, v27
	v_mov_b32_e32 v0, v32
	v_addc_co_u32_e64 v28, s[0:1], v45, v28, s[0:1]
	v_mad_u64_u32 v[32:33], s[0:1], s3, v7, v[0:1]
	v_lshlrev_b64 v[29:30], 2, v[29:30]
	v_mov_b32_e32 v7, v8
	v_add_co_u32_e64 v33, s[0:1], v43, v29
	v_addc_co_u32_e64 v34, s[0:1], v45, v30, s[0:1]
	v_lshlrev_b64 v[29:30], 2, v[31:32]
	v_add_co_u32_e64 v35, s[0:1], v43, v29
	v_addc_co_u32_e64 v36, s[0:1], v45, v30, s[0:1]
	global_load_dword v30, v[5:6], off
	global_load_dword v31, v[18:19], off
	;; [unrolled: 1-line block ×5, first 2 shown]
	v_add_co_u32_e64 v5, s[0:1], v43, v16
	v_addc_co_u32_e64 v6, s[0:1], v45, v17, s[0:1]
	global_load_dword v27, v[5:6], off
	s_waitcnt vmcnt(12)
	v_lshrrev_b32_e32 v32, 16, v20
	s_waitcnt vmcnt(11)
	v_lshrrev_b32_e32 v33, 16, v21
	;; [unrolled: 2-line block ×12, first 2 shown]
.LBB0_13:
	s_or_b64 exec, exec, s[6:7]
	v_add_f16_e32 v0, v20, v44
	s_mov_b32 s6, 0x388b3b15
	v_sub_f16_e32 v5, v32, v53
	v_add_f16_e32 v6, v21, v42
	v_pk_mul_f16 v38, v0, s6 op_sel_hi:[0,1]
	s_mov_b32 s22, 0xba95b770
	s_mov_b32 s7, 0xb5ac388b
	v_sub_f16_e32 v28, v33, v52
	v_add_f16_e32 v18, v22, v40
	v_pk_fma_f16 v16, v5, s22, v38 op_sel_hi:[0,1,1] neg_lo:[1,0,0] neg_hi:[1,0,0]
	v_pk_mul_f16 v46, v6, s7 op_sel_hi:[0,1]
	s_mov_b32 s23, 0xbb7bba95
	s_mov_b32 s8, 0xbbc42fb7
	v_sub_f16_e32 v29, v34, v45
	s_waitcnt vmcnt(0)
	v_pk_add_f16 v16, v16, v27 op_sel_hi:[1,0]
	v_pk_fma_f16 v17, v28, s23, v46 op_sel_hi:[0,1,1] neg_lo:[1,0,0] neg_hi:[1,0,0]
	v_pk_mul_f16 v47, v18, s8 op_sel_hi:[0,1]
	s_mov_b32 s26, 0xb3a8bbf1
	v_add_f16_e32 v19, v23, v31
	s_mov_b32 s14, 0xb9fdb5ac
	v_pk_add_f16 v16, v17, v16
	v_pk_fma_f16 v17, v29, s26, v47 op_sel_hi:[0,1,1] neg_lo:[1,0,0] neg_hi:[1,0,0]
	s_mov_b32 s29, 0x394ebb7b
	v_sub_f16_e32 v48, v35, v43
	v_pk_mul_f16 v49, v19, s14 op_sel_hi:[0,1]
	s_mov_b32 s17, 0x2fb7b9fd
	v_add_f16_e32 v50, v24, v30
	v_pk_add_f16 v16, v17, v16
	v_pk_fma_f16 v17, v48, s29, v49 op_sel_hi:[0,1,1] neg_lo:[1,0,0] neg_hi:[1,0,0]
	s_mov_b32 s34, 0x3bf1b94e
	v_sub_f16_e32 v51, v36, v41
	v_pk_mul_f16 v54, v50, s17 op_sel_hi:[0,1]
	s_mov_b32 s9, 0xb5ac2fb7
	v_pk_add_f16 v16, v17, v16
	v_pk_fma_f16 v17, v51, s34, v54 op_sel_hi:[0,1,1] neg_lo:[1,0,0] neg_hi:[1,0,0]
	s_mov_b32 s28, 0xbb7bbbf1
	v_pk_mul_f16 v55, v0, s9 op_sel_hi:[0,1]
	s_mov_b32 s15, 0xb9fdbbc4
	v_pk_add_f16 v16, v17, v16
	v_pk_fma_f16 v17, v5, s28, v55 op_sel_hi:[0,1,1] neg_lo:[1,0,0] neg_hi:[1,0,0]
	s_mov_b32 s33, 0x394eb3a8
	v_pk_mul_f16 v56, v6, s15 op_sel_hi:[0,1]
	v_pk_add_f16 v17, v17, v27 op_sel_hi:[1,0]
	v_pk_fma_f16 v57, v28, s33, v56 op_sel_hi:[0,1,1] neg_lo:[1,0,0] neg_hi:[1,0,0]
	s_mov_b32 s16, 0x3b15b5ac
	v_pk_add_f16 v17, v57, v17
	s_mov_b32 s36, 0x37703b7b
	v_pk_mul_f16 v57, v18, s16 op_sel_hi:[0,1]
	v_pk_fma_f16 v58, v29, s36, v57 op_sel_hi:[0,1,1] neg_lo:[1,0,0] neg_hi:[1,0,0]
	s_mov_b32 s18, 0x2fb73b15
	v_pk_add_f16 v17, v58, v17
	s_mov_b32 s38, 0xbbf13770
	v_pk_mul_f16 v58, v19, s18 op_sel_hi:[0,1]
	;; [unrolled: 5-line block ×3, first 2 shown]
	v_pk_fma_f16 v60, v51, s39, v59 op_sel_hi:[0,1,1] neg_lo:[1,0,0] neg_hi:[1,0,0]
	v_pk_add_f16 v17, v60, v17
	s_mov_b32 s47, 0x3b15bbc4
	v_add_f16_e32 v60, v25, v26
	s_mov_b32 s48, 0x3770b3a8
	s_mov_b32 s30, 0x388bb9fd
	v_sub_f16_e32 v61, v37, v39
	v_pk_mul_f16 v62, v60, s47 op_sel_hi:[0,1]
	s_mov_b32 s19, 0xbbc4b9fd
	s_mov_b32 s42, 0x3a95b94e
	v_pk_fma_f16 v63, v61, s48, v62 op_sel_hi:[0,1,1] neg_lo:[1,0,0] neg_hi:[1,0,0]
	v_pk_mul_f16 v64, v60, s30 op_sel_hi:[0,1]
	v_pk_mul_f16 v0, v0, s19 op_sel_hi:[0,1]
	s_mov_b32 s40, 0xb3a8b94e
	s_mov_b32 s25, 0x3b152fb7
	v_pk_fma_f16 v65, v61, s42, v64 op_sel_hi:[0,1,1] neg_lo:[1,0,0] neg_hi:[1,0,0]
	v_pk_add_f16 v16, v63, v16
	v_pk_fma_f16 v63, v5, s40, v0 op_sel_hi:[0,1,1] neg_lo:[1,0,0] neg_hi:[1,0,0]
	v_pk_mul_f16 v6, v6, s25 op_sel_hi:[0,1]
	s_mov_b32 s41, 0x37703bf1
	v_pk_add_f16 v17, v65, v17
	v_pk_add_f16 v63, v63, v27 op_sel_hi:[1,0]
	v_pk_fma_f16 v65, v28, s41, v6 op_sel_hi:[0,1,1] neg_lo:[1,0,0] neg_hi:[1,0,0]
	s_mov_b32 s27, 0xb9fd388b
	v_pk_fma_f16 v0, v5, s40, v0 op_sel_hi:[0,1,1]
	v_pk_add_f16 v63, v65, v63
	v_pk_mul_f16 v65, v18, s27 op_sel_hi:[0,1]
	s_mov_b32 s43, 0xb94eba95
	s_mov_b32 s31, 0x388bbbc4
	v_pk_add_f16 v0, v0, v27 op_sel_hi:[1,0]
	v_pk_fma_f16 v6, v28, s41, v6 op_sel_hi:[0,1,1]
	v_pk_mul_f16 v19, v19, s31 op_sel_hi:[0,1]
	s_mov_b32 s44, 0x3a9533a8
	s_mov_b32 s35, 0xb5ac3b15
	v_pk_add_f16 v0, v6, v0
	v_pk_fma_f16 v6, v29, s43, v65 op_sel_hi:[0,1,1]
	v_pk_mul_f16 v50, v50, s35 op_sel_hi:[0,1]
	s_mov_b32 s45, 0xbb7b3770
	s_mov_b32 s37, 0x2fb7b5ac
	v_pk_add_f16 v0, v6, v0
	v_pk_fma_f16 v6, v48, s44, v19 op_sel_hi:[0,1,1]
	v_pk_mul_f16 v60, v60, s37 op_sel_hi:[0,1]
	s_mov_b32 s46, 0x3bf1bb7b
	v_pk_add_f16 v0, v6, v0
	v_pk_fma_f16 v6, v51, s45, v50 op_sel_hi:[0,1,1]
	v_pk_add_f16 v0, v6, v0
	v_pk_fma_f16 v6, v61, s46, v60 op_sel_hi:[0,1,1]
	v_pk_fma_f16 v18, v29, s43, v65 op_sel_hi:[0,1,1] neg_lo:[1,0,0] neg_hi:[1,0,0]
	v_pk_add_f16 v0, v6, v0
	v_pk_add_f16 v18, v18, v63
	v_pk_fma_f16 v63, v48, s44, v19 op_sel_hi:[0,1,1] neg_lo:[1,0,0] neg_hi:[1,0,0]
	v_alignbit_b32 v19, v0, v0, 16
	v_and_b32_e32 v0, 1, v11
	v_cmp_eq_u32_e64 s[0:1], 1, v0
	v_add_f16_e32 v0, v20, v27
	v_add_f16_e32 v0, v21, v0
	;; [unrolled: 1-line block ×7, first 2 shown]
	v_pk_add_f16 v18, v63, v18
	v_pk_fma_f16 v63, v51, s45, v50 op_sel_hi:[0,1,1] neg_lo:[1,0,0] neg_hi:[1,0,0]
	v_add_f16_e32 v0, v30, v0
	v_pk_add_f16 v18, v63, v18
	v_pk_fma_f16 v63, v61, s46, v60 op_sel_hi:[0,1,1] neg_lo:[1,0,0] neg_hi:[1,0,0]
	v_mov_b32_e32 v6, 0x152
	v_add_f16_e32 v0, v31, v0
	v_pk_add_f16 v18, v63, v18
	v_cndmask_b32_e64 v63, 0, v6, s[0:1]
	v_add_f16_e32 v0, v40, v0
	v_lshl_add_u32 v50, v63, 1, 0
	v_add_f16_e32 v0, v42, v0
	v_mad_u32_u24 v60, v8, 26, v50
	v_add_f16_e32 v0, v44, v0
	ds_write_b16 v60, v0
	v_pk_fma_f16 v0, v5, s28, v55 op_sel_hi:[0,1,1]
	v_pk_add_f16 v0, v0, v27 op_sel_hi:[1,0]
	v_pk_fma_f16 v6, v28, s33, v56 op_sel_hi:[0,1,1]
	v_pk_add_f16 v0, v6, v0
	v_pk_fma_f16 v6, v29, s36, v57 op_sel_hi:[0,1,1]
	v_pk_add_f16 v0, v6, v0
	;; [unrolled: 2-line block ×4, first 2 shown]
	v_pk_fma_f16 v6, v61, s42, v64 op_sel_hi:[0,1,1]
	v_pk_fma_f16 v5, v5, s22, v38 op_sel_hi:[0,1,1]
	v_pk_add_f16 v0, v6, v0
	v_pk_fma_f16 v6, v28, s23, v46 op_sel_hi:[0,1,1]
	v_pk_add_f16 v5, v5, v27 op_sel_hi:[1,0]
	v_pk_add_f16 v5, v6, v5
	v_pk_fma_f16 v6, v29, s26, v47 op_sel_hi:[0,1,1]
	ds_write_b128 v60, v[16:19] offset:2
	v_pk_add_f16 v5, v6, v5
	v_alignbit_b32 v16, v0, v0, 16
	v_pk_fma_f16 v0, v48, s29, v49 op_sel_hi:[0,1,1]
	v_pk_add_f16 v0, v0, v5
	v_pk_fma_f16 v5, v51, s34, v54 op_sel_hi:[0,1,1]
	v_pk_add_f16 v0, v5, v0
	;; [unrolled: 2-line block ×3, first 2 shown]
	v_alignbit_b32 v17, v5, v5, 16
	v_lshl_add_u32 v18, v8, 1, v50
	s_movk_i32 s0, 0xffe8
	s_load_dwordx2 s[4:5], s[4:5], 0x0
	ds_write_b64 v60, v[16:17] offset:18
	s_waitcnt lgkmcnt(0)
	; wave barrier
	s_waitcnt lgkmcnt(0)
	v_mad_i32_i24 v11, v8, s0, v60
	v_lshl_add_u32 v19, v9, 1, v50
	v_lshl_add_u32 v0, v10, 1, v50
	;; [unrolled: 1-line block ×5, first 2 shown]
	ds_read_u16 v58, v18
	ds_read_u16 v50, v11 offset:338
	ds_read_u16 v49, v11 offset:390
	;; [unrolled: 1-line block ×5, first 2 shown]
	ds_read_u16 v54, v0
	ds_read_u16 v55, v6
	;; [unrolled: 1-line block ×5, first 2 shown]
	ds_read_u16 v51, v11 offset:598
	v_cmp_gt_u32_e64 s[0:1], 13, v8
	v_lshlrev_b32_e32 v28, 1, v63
	v_lshlrev_b32_e32 v38, 1, v15
                                        ; implicit-def: $vgpr29
	s_and_saveexec_b64 s[2:3], s[0:1]
	s_cbranch_execz .LBB0_15
; %bb.14:
	v_add3_u32 v5, 0, v38, v28
	ds_read_u16 v5, v5
	ds_read_u16 v29, v11 offset:650
.LBB0_15:
	s_or_b64 exec, exec, s[2:3]
	v_sub_f16_e32 v44, v20, v44
	v_add_f16_sdwa v61, v32, v27 dst_sel:DWORD dst_unused:UNUSED_PAD src0_sel:DWORD src1_sel:WORD_1
	v_add_f16_e32 v32, v32, v53
	v_sub_f16_e32 v42, v21, v42
	v_pk_mul_f16 v20, v44, s22 op_sel_hi:[0,1]
	v_add_f16_e32 v61, v33, v61
	v_add_f16_e32 v33, v33, v52
	v_sub_f16_e32 v40, v22, v40
	v_pk_fma_f16 v21, v32, s6, v20 op_sel_hi:[0,1,1]
	v_pk_mul_f16 v22, v42, s23 op_sel_hi:[0,1]
	v_add_f16_e32 v61, v34, v61
	v_sub_f16_e32 v25, v25, v26
	v_pk_add_f16 v21, v21, v27 op_sel:[0,1]
	v_pk_fma_f16 v26, v33, s7, v22 op_sel_hi:[0,1,1]
	v_add_f16_e32 v61, v35, v61
	v_add_f16_e32 v34, v34, v45
	v_pk_add_f16 v21, v26, v21
	v_pk_mul_f16 v26, v40, s26 op_sel_hi:[0,1]
	v_add_f16_e32 v61, v36, v61
	v_sub_f16_e32 v23, v23, v31
	v_add_f16_e32 v31, v36, v41
	v_pk_fma_f16 v36, v34, s8, v26 op_sel_hi:[0,1,1]
	v_add_f16_e32 v35, v35, v43
	v_pk_add_f16 v21, v36, v21
	v_pk_mul_f16 v36, v23, s29 op_sel_hi:[0,1]
	v_pk_fma_f16 v20, v32, s6, v20 op_sel_hi:[0,1,1] neg_lo:[0,0,1] neg_hi:[0,0,1]
	v_add_f16_e32 v61, v37, v61
	v_sub_f16_e32 v24, v24, v30
	v_add_f16_e32 v30, v37, v39
	v_pk_fma_f16 v37, v35, s14, v36 op_sel_hi:[0,1,1]
	v_pk_add_f16 v20, v20, v27 op_sel:[0,1]
	v_pk_fma_f16 v22, v33, s7, v22 op_sel_hi:[0,1,1] neg_lo:[0,0,1] neg_hi:[0,0,1]
	v_pk_add_f16 v21, v37, v21
	v_pk_mul_f16 v37, v24, s34 op_sel_hi:[0,1]
	v_pk_add_f16 v20, v22, v20
	v_pk_fma_f16 v22, v34, s8, v26 op_sel_hi:[0,1,1] neg_lo:[0,0,1] neg_hi:[0,0,1]
	v_add_f16_e32 v61, v39, v61
	v_pk_fma_f16 v39, v31, s17, v37 op_sel_hi:[0,1,1]
	v_pk_add_f16 v20, v22, v20
	v_pk_fma_f16 v22, v35, s14, v36 op_sel_hi:[0,1,1] neg_lo:[0,0,1] neg_hi:[0,0,1]
	v_pk_add_f16 v21, v39, v21
	v_pk_mul_f16 v39, v25, s48 op_sel_hi:[0,1]
	v_pk_add_f16 v20, v22, v20
	v_pk_fma_f16 v22, v31, s17, v37 op_sel_hi:[0,1,1] neg_lo:[0,0,1] neg_hi:[0,0,1]
	v_pk_add_f16 v20, v22, v20
	v_pk_fma_f16 v22, v30, s47, v39 op_sel_hi:[0,1,1] neg_lo:[0,0,1] neg_hi:[0,0,1]
	v_pk_mul_f16 v26, v44, s28 op_sel_hi:[0,1]
	v_pk_add_f16 v20, v22, v20
	v_pk_fma_f16 v22, v32, s9, v26 op_sel_hi:[0,1,1]
	v_pk_mul_f16 v36, v42, s33 op_sel_hi:[0,1]
	v_pk_add_f16 v22, v22, v27 op_sel:[0,1]
	v_pk_fma_f16 v37, v33, s15, v36 op_sel_hi:[0,1,1]
	v_pk_add_f16 v22, v37, v22
	v_pk_mul_f16 v37, v40, s36 op_sel_hi:[0,1]
	v_add_f16_e32 v61, v41, v61
	v_pk_fma_f16 v41, v30, s47, v39 op_sel_hi:[0,1,1]
	v_pk_fma_f16 v39, v34, s16, v37 op_sel_hi:[0,1,1]
	v_pk_add_f16 v22, v39, v22
	v_pk_mul_f16 v39, v23, s38 op_sel_hi:[0,1]
	v_pk_fma_f16 v26, v32, s9, v26 op_sel_hi:[0,1,1] neg_lo:[0,0,1] neg_hi:[0,0,1]
	v_pk_add_f16 v21, v41, v21
	v_pk_fma_f16 v41, v35, s18, v39 op_sel_hi:[0,1,1]
	v_pk_add_f16 v26, v26, v27 op_sel:[0,1]
	v_pk_fma_f16 v36, v33, s15, v36 op_sel_hi:[0,1,1] neg_lo:[0,0,1] neg_hi:[0,0,1]
	v_pk_add_f16 v22, v41, v22
	v_pk_mul_f16 v41, v24, s39 op_sel_hi:[0,1]
	v_pk_add_f16 v26, v36, v26
	v_pk_fma_f16 v36, v34, s16, v37 op_sel_hi:[0,1,1] neg_lo:[0,0,1] neg_hi:[0,0,1]
	v_add_f16_e32 v61, v43, v61
	v_pk_fma_f16 v43, v31, s24, v41 op_sel_hi:[0,1,1]
	v_pk_add_f16 v26, v36, v26
	v_pk_fma_f16 v36, v35, s18, v39 op_sel_hi:[0,1,1] neg_lo:[0,0,1] neg_hi:[0,0,1]
	v_pk_add_f16 v22, v43, v22
	v_pk_mul_f16 v43, v25, s42 op_sel_hi:[0,1]
	v_pk_add_f16 v26, v36, v26
	v_pk_fma_f16 v36, v31, s24, v41 op_sel_hi:[0,1,1] neg_lo:[0,0,1] neg_hi:[0,0,1]
	v_pk_add_f16 v26, v36, v26
	v_pk_fma_f16 v36, v30, s30, v43 op_sel_hi:[0,1,1] neg_lo:[0,0,1] neg_hi:[0,0,1]
	v_pk_add_f16 v26, v36, v26
	v_pk_mul_f16 v36, v44, s40 op_sel_hi:[0,1]
	v_pk_fma_f16 v37, v32, s19, v36 op_sel_hi:[0,1,1]
	v_pk_mul_f16 v39, v42, s41 op_sel_hi:[0,1]
	v_pk_add_f16 v37, v37, v27 op_sel:[0,1]
	v_pk_fma_f16 v41, v33, s25, v39 op_sel_hi:[0,1,1]
	v_pk_mul_f16 v40, v40, s43 op_sel_hi:[0,1]
	v_pk_fma_f16 v32, v32, s19, v36 op_sel_hi:[0,1,1] neg_lo:[0,0,1] neg_hi:[0,0,1]
	v_pk_add_f16 v37, v41, v37
	v_pk_fma_f16 v41, v34, s27, v40 op_sel_hi:[0,1,1]
	v_pk_add_f16 v27, v32, v27 op_sel:[0,1]
	v_pk_fma_f16 v32, v33, s25, v39 op_sel_hi:[0,1,1] neg_lo:[0,0,1] neg_hi:[0,0,1]
	v_pk_add_f16 v37, v41, v37
	v_pk_mul_f16 v41, v23, s44 op_sel_hi:[0,1]
	v_pk_add_f16 v27, v32, v27
	v_pk_fma_f16 v32, v34, s27, v40 op_sel_hi:[0,1,1] neg_lo:[0,0,1] neg_hi:[0,0,1]
	v_pk_fma_f16 v23, v35, s31, v41 op_sel_hi:[0,1,1]
	v_pk_mul_f16 v24, v24, s45 op_sel_hi:[0,1]
	v_pk_add_f16 v27, v32, v27
	v_pk_fma_f16 v32, v35, s31, v41 op_sel_hi:[0,1,1] neg_lo:[0,0,1] neg_hi:[0,0,1]
	v_pk_add_f16 v23, v23, v37
	v_pk_fma_f16 v37, v31, s35, v24 op_sel_hi:[0,1,1]
	v_pk_mul_f16 v25, v25, s46 op_sel_hi:[0,1]
	v_pk_add_f16 v27, v32, v27
	v_pk_fma_f16 v24, v31, s35, v24 op_sel_hi:[0,1,1] neg_lo:[0,0,1] neg_hi:[0,0,1]
	v_pk_add_f16 v23, v37, v23
	v_pk_fma_f16 v37, v30, s37, v25 op_sel_hi:[0,1,1]
	v_pk_add_f16 v24, v24, v27
	v_pk_fma_f16 v25, v30, s37, v25 op_sel_hi:[0,1,1] neg_lo:[0,0,1] neg_hi:[0,0,1]
	v_add_f16_e32 v61, v45, v61
	v_pk_fma_f16 v45, v30, s30, v43 op_sel_hi:[0,1,1]
	v_pk_add_f16 v24, v25, v24
	v_add_f16_e32 v61, v52, v61
	v_pk_add_f16 v22, v45, v22
	v_pk_add_f16 v23, v37, v23
	v_alignbit_b32 v24, v24, v24, 16
	v_add_f16_e32 v61, v53, v61
	s_waitcnt lgkmcnt(0)
	; wave barrier
	s_waitcnt lgkmcnt(0)
	ds_write_b128 v60, v[21:24] offset:2
	v_alignbit_b32 v21, v26, v26, 16
	v_alignbit_b32 v22, v20, v20, 16
	ds_write_b16 v60, v61
	ds_write_b64 v60, v[21:22] offset:18
	s_waitcnt lgkmcnt(0)
	; wave barrier
	s_waitcnt lgkmcnt(0)
	ds_read_u16 v22, v18
	ds_read_u16 v31, v11 offset:338
	ds_read_u16 v30, v11 offset:390
	;; [unrolled: 1-line block ×5, first 2 shown]
	ds_read_u16 v26, v0
	ds_read_u16 v25, v6
	;; [unrolled: 1-line block ×5, first 2 shown]
	ds_read_u16 v35, v11 offset:598
                                        ; implicit-def: $vgpr21
	s_and_saveexec_b64 s[2:3], s[0:1]
	s_cbranch_execz .LBB0_17
; %bb.16:
	v_add3_u32 v20, 0, v38, v28
	ds_read_u16 v20, v20
	ds_read_u16 v21, v11 offset:650
.LBB0_17:
	s_or_b64 exec, exec, s[2:3]
	v_add_u32_e32 v36, -13, v8
	v_cndmask_b32_e64 v39, v36, v8, s[0:1]
	v_mov_b32_e32 v40, 0
	v_lshlrev_b64 v[36:37], 2, v[39:40]
	v_mov_b32_e32 v40, s13
	v_add_co_u32_e64 v36, s[2:3], s12, v36
	v_addc_co_u32_e64 v37, s[2:3], v40, v37, s[2:3]
	s_movk_i32 s2, 0x4f
	v_mul_lo_u16_sdwa v40, v9, s2 dst_sel:DWORD dst_unused:UNUSED_PAD src0_sel:BYTE_0 src1_sel:DWORD
	v_lshrrev_b16_e32 v41, 10, v40
	v_mul_lo_u16_e32 v40, 13, v41
	v_sub_u16_e32 v42, v9, v40
	v_mul_lo_u16_sdwa v9, v10, s2 dst_sel:DWORD dst_unused:UNUSED_PAD src0_sel:BYTE_0 src1_sel:DWORD
	v_lshrrev_b16_e32 v45, 10, v9
	v_mul_lo_u16_e32 v9, 13, v45
	v_sub_u16_e32 v52, v10, v9
	;; [unrolled: 4-line block ×5, first 2 shown]
	global_load_dword v14, v[36:37], off
	v_mov_b32_e32 v43, 2
	v_lshlrev_b32_sdwa v44, v43, v42 dst_sel:DWORD dst_unused:UNUSED_PAD src0_sel:DWORD src1_sel:BYTE_0
	v_lshlrev_b32_sdwa v36, v43, v67 dst_sel:DWORD dst_unused:UNUSED_PAD src0_sel:DWORD src1_sel:BYTE_0
	;; [unrolled: 1-line block ×5, first 2 shown]
	global_load_dword v40, v44, s[12:13]
	global_load_dword v13, v53, s[12:13]
	;; [unrolled: 1-line block ×5, first 2 shown]
	v_mul_lo_u16_sdwa v36, v15, s2 dst_sel:DWORD dst_unused:UNUSED_PAD src0_sel:BYTE_0 src1_sel:DWORD
	v_lshrrev_b16_e32 v36, 10, v36
	v_mul_lo_u16_e32 v36, 13, v36
	v_sub_u16_e32 v36, v15, v36
	v_lshlrev_b32_sdwa v15, v43, v36 dst_sel:DWORD dst_unused:UNUSED_PAD src0_sel:DWORD src1_sel:BYTE_0
	global_load_dword v37, v15, s[12:13]
	v_cmp_lt_u32_e64 s[2:3], 12, v8
	v_cndmask_b32_e64 v43, 0, 52, s[2:3]
	v_mov_b32_e32 v15, 1
	v_add_u32_e32 v43, 0, v43
	v_lshlrev_b32_e32 v39, 1, v39
	v_add3_u32 v39, v43, v39, v28
	v_mad_u32_u24 v41, v41, 52, 0
	v_mad_u32_u24 v43, v45, 52, 0
	v_lshlrev_b32_sdwa v42, v15, v42 dst_sel:DWORD dst_unused:UNUSED_PAD src0_sel:DWORD src1_sel:BYTE_0
	v_lshlrev_b32_sdwa v44, v15, v52 dst_sel:DWORD dst_unused:UNUSED_PAD src0_sel:DWORD src1_sel:BYTE_0
	v_add3_u32 v42, v41, v42, v28
	v_add3_u32 v41, v43, v44, v28
	s_waitcnt lgkmcnt(0)
	; wave barrier
	s_waitcnt vmcnt(6) lgkmcnt(0)
	v_mul_f16_sdwa v43, v31, v14 dst_sel:DWORD dst_unused:UNUSED_PAD src0_sel:DWORD src1_sel:WORD_1
	v_fma_f16 v43, v50, v14, -v43
	v_sub_f16_e32 v43, v58, v43
	s_waitcnt vmcnt(5)
	v_mul_f16_sdwa v44, v30, v40 dst_sel:DWORD dst_unused:UNUSED_PAD src0_sel:DWORD src1_sel:WORD_1
	s_waitcnt vmcnt(4)
	v_mul_f16_sdwa v45, v32, v13 dst_sel:DWORD dst_unused:UNUSED_PAD src0_sel:DWORD src1_sel:WORD_1
	v_fma_f16 v44, v49, v40, -v44
	s_waitcnt vmcnt(3)
	v_mul_f16_sdwa v52, v33, v12 dst_sel:DWORD dst_unused:UNUSED_PAD src0_sel:DWORD src1_sel:WORD_1
	v_fma_f16 v45, v48, v13, -v45
	v_sub_f16_e32 v44, v59, v44
	v_fma_f16 v52, v47, v12, -v52
	v_fma_f16 v58, v58, 2.0, -v43
	v_sub_f16_e32 v45, v54, v45
	ds_write_b16 v39, v43 offset:26
	v_fma_f16 v43, v59, 2.0, -v44
	s_waitcnt vmcnt(2)
	v_mul_f16_sdwa v53, v34, v10 dst_sel:DWORD dst_unused:UNUSED_PAD src0_sel:DWORD src1_sel:WORD_1
	s_waitcnt vmcnt(1)
	v_mul_f16_sdwa v62, v35, v9 dst_sel:DWORD dst_unused:UNUSED_PAD src0_sel:DWORD src1_sel:WORD_1
	v_sub_f16_e32 v52, v55, v52
	v_fma_f16 v54, v54, 2.0, -v45
	ds_write_b16 v39, v58
	ds_write_b16 v42, v44 offset:26
	ds_write_b16 v42, v43
	ds_write_b16 v41, v54
	ds_write_b16 v41, v45 offset:26
	v_mad_u32_u24 v43, v60, 52, 0
	v_lshlrev_b32_sdwa v44, v15, v61 dst_sel:DWORD dst_unused:UNUSED_PAD src0_sel:DWORD src1_sel:BYTE_0
	v_fma_f16 v53, v46, v10, -v53
	v_fma_f16 v62, v51, v9, -v62
	v_fma_f16 v55, v55, 2.0, -v52
	v_add3_u32 v43, v43, v44, v28
	v_mad_u32_u24 v44, v63, 52, 0
	v_lshlrev_b32_sdwa v45, v15, v64 dst_sel:DWORD dst_unused:UNUSED_PAD src0_sel:DWORD src1_sel:BYTE_0
	v_sub_f16_e32 v53, v56, v53
	v_sub_f16_e32 v62, v57, v62
	ds_write_b16 v43, v55
	ds_write_b16 v43, v52 offset:26
	v_add3_u32 v44, v44, v45, v28
	v_mad_u32_u24 v45, v66, 52, 0
	v_lshlrev_b32_sdwa v52, v15, v67 dst_sel:DWORD dst_unused:UNUSED_PAD src0_sel:DWORD src1_sel:BYTE_0
	v_fma_f16 v56, v56, 2.0, -v53
	v_fma_f16 v57, v57, 2.0, -v62
	v_add3_u32 v45, v45, v52, v28
	ds_write_b16 v44, v56
	ds_write_b16 v44, v53 offset:26
	ds_write_b16 v45, v57
	ds_write_b16 v45, v62 offset:26
	s_and_saveexec_b64 s[2:3], s[0:1]
	s_cbranch_execz .LBB0_19
; %bb.18:
	s_waitcnt vmcnt(0)
	v_mul_f16_sdwa v52, v21, v37 dst_sel:DWORD dst_unused:UNUSED_PAD src0_sel:DWORD src1_sel:WORD_1
	v_fma_f16 v52, v29, v37, -v52
	v_sub_f16_e32 v52, v5, v52
	v_lshlrev_b32_sdwa v15, v15, v36 dst_sel:DWORD dst_unused:UNUSED_PAD src0_sel:DWORD src1_sel:BYTE_0
	v_fma_f16 v5, v5, 2.0, -v52
	v_add3_u32 v15, 0, v15, v28
	ds_write_b16 v15, v5 offset:624
	ds_write_b16 v15, v52 offset:650
.LBB0_19:
	s_or_b64 exec, exec, s[2:3]
	v_mul_f16_sdwa v15, v48, v13 dst_sel:DWORD dst_unused:UNUSED_PAD src0_sel:DWORD src1_sel:WORD_1
	v_fma_f16 v13, v32, v13, v15
	v_mul_f16_sdwa v15, v47, v12 dst_sel:DWORD dst_unused:UNUSED_PAD src0_sel:DWORD src1_sel:WORD_1
	v_mul_f16_sdwa v5, v50, v14 dst_sel:DWORD dst_unused:UNUSED_PAD src0_sel:DWORD src1_sel:WORD_1
	v_fma_f16 v12, v33, v12, v15
	v_mul_f16_sdwa v15, v46, v10 dst_sel:DWORD dst_unused:UNUSED_PAD src0_sel:DWORD src1_sel:WORD_1
	v_fma_f16 v5, v31, v14, v5
	;; [unrolled: 2-line block ×4, first 2 shown]
	v_fma_f16 v9, v35, v9, v15
	v_sub_f16_e32 v31, v22, v5
	v_sub_f16_e32 v33, v27, v14
	;; [unrolled: 1-line block ×6, first 2 shown]
	v_fma_f16 v32, v22, 2.0, -v31
	v_fma_f16 v34, v27, 2.0, -v33
	;; [unrolled: 1-line block ×6, first 2 shown]
	s_waitcnt lgkmcnt(0)
	; wave barrier
	s_waitcnt lgkmcnt(0)
	v_add3_u32 v30, 0, v38, v28
	ds_read_u16 v23, v0
	ds_read_u16 v15, v6
	;; [unrolled: 1-line block ×6, first 2 shown]
	ds_read_u16 v10, v11 offset:364
	ds_read_u16 v13, v11 offset:416
	;; [unrolled: 1-line block ×5, first 2 shown]
	ds_read_u16 v26, v19
	ds_read_u16 v27, v11 offset:624
	s_waitcnt lgkmcnt(0)
	; wave barrier
	s_waitcnt lgkmcnt(0)
	ds_write_b16 v39, v32
	ds_write_b16 v39, v31 offset:26
	ds_write_b16 v42, v34
	ds_write_b16 v42, v33 offset:26
	;; [unrolled: 2-line block ×6, first 2 shown]
	s_and_saveexec_b64 s[2:3], s[0:1]
	s_cbranch_execz .LBB0_21
; %bb.20:
	s_waitcnt vmcnt(0)
	v_mul_f16_sdwa v29, v29, v37 dst_sel:DWORD dst_unused:UNUSED_PAD src0_sel:DWORD src1_sel:WORD_1
	v_fma_f16 v21, v21, v37, v29
	v_mov_b32_e32 v29, 1
	v_sub_f16_e32 v21, v20, v21
	v_lshlrev_b32_sdwa v29, v29, v36 dst_sel:DWORD dst_unused:UNUSED_PAD src0_sel:DWORD src1_sel:BYTE_0
	v_fma_f16 v20, v20, 2.0, -v21
	v_add3_u32 v28, 0, v29, v28
	ds_write_b16 v28, v20 offset:624
	ds_write_b16 v28, v21 offset:650
.LBB0_21:
	s_or_b64 exec, exec, s[2:3]
	s_waitcnt lgkmcnt(0)
	; wave barrier
	s_waitcnt lgkmcnt(0)
	s_and_saveexec_b64 s[0:1], vcc
	s_cbranch_execz .LBB0_23
; %bb.22:
	v_mul_u32_u24_e32 v8, 12, v8
	v_lshlrev_b32_e32 v8, 2, v8
	global_load_dwordx4 v[31:34], v8, s[12:13] offset:84
	global_load_dwordx4 v[35:38], v8, s[12:13] offset:52
	;; [unrolled: 1-line block ×3, first 2 shown]
	v_mul_lo_u32 v8, s5, v3
	v_mul_lo_u32 v20, s4, v4
	v_mad_u64_u32 v[3:4], s[0:1], s4, v3, 0
	ds_read_u16 v18, v18
	ds_read_u16 v21, v11 offset:364
	ds_read_u16 v19, v19
	ds_read_u16 v28, v11 offset:624
	ds_read_u16 v29, v11 offset:572
	;; [unrolled: 1-line block ×5, first 2 shown]
	ds_read_u16 v0, v0
	ds_read_u16 v6, v6
	;; [unrolled: 1-line block ×5, first 2 shown]
	v_add3_u32 v4, v4, v20, v8
	s_movk_i32 s5, 0x3770
	s_movk_i32 s8, 0x3a95
	;; [unrolled: 1-line block ×9, first 2 shown]
	s_mov_b32 s3, 0xb5ac
	s_mov_b32 s4, 0xb9fd
	s_mov_b32 s9, 0xbbc4
	s_mov_b32 s15, 0xb94e
	s_mov_b32 s14, 0xbbf1
	s_mov_b32 s13, 0xb770
	s_mov_b32 s17, 0xbb7b
	s_mov_b32 s18, 0xb3a8
	s_mov_b32 s19, 0xba95
	v_lshlrev_b64 v[3:4], 2, v[3:4]
	v_lshlrev_b64 v[1:2], 2, v[1:2]
	v_add_co_u32_e32 v3, vcc, s10, v3
	s_waitcnt vmcnt(2)
	v_mul_f16_sdwa v8, v27, v34 dst_sel:DWORD dst_unused:UNUSED_PAD src0_sel:DWORD src1_sel:WORD_1
	s_waitcnt vmcnt(1)
	v_mul_f16_sdwa v20, v26, v35 dst_sel:DWORD dst_unused:UNUSED_PAD src0_sel:DWORD src1_sel:WORD_1
	s_waitcnt lgkmcnt(10)
	v_mul_f16_sdwa v45, v19, v35 dst_sel:DWORD dst_unused:UNUSED_PAD src0_sel:DWORD src1_sel:WORD_1
	s_waitcnt lgkmcnt(9)
	v_mul_f16_sdwa v46, v28, v34 dst_sel:DWORD dst_unused:UNUSED_PAD src0_sel:DWORD src1_sel:WORD_1
	v_mul_f16_sdwa v47, v25, v33 dst_sel:DWORD dst_unused:UNUSED_PAD src0_sel:DWORD src1_sel:WORD_1
	;; [unrolled: 1-line block ×3, first 2 shown]
	v_fma_f16 v28, v28, v34, v8
	v_fma_f16 v19, v19, v35, v20
	s_waitcnt lgkmcnt(4)
	v_mul_f16_sdwa v49, v0, v36 dst_sel:DWORD dst_unused:UNUSED_PAD src0_sel:DWORD src1_sel:WORD_1
	v_mul_f16_sdwa v50, v29, v33 dst_sel:DWORD dst_unused:UNUSED_PAD src0_sel:DWORD src1_sel:WORD_1
	;; [unrolled: 1-line block ×3, first 2 shown]
	s_waitcnt lgkmcnt(3)
	v_mul_f16_sdwa v53, v6, v37 dst_sel:DWORD dst_unused:UNUSED_PAD src0_sel:DWORD src1_sel:WORD_1
	v_fma_f16 v20, v26, v35, -v45
	v_fma_f16 v26, v27, v34, -v46
	v_fma_f16 v27, v29, v33, v47
	v_fma_f16 v29, v0, v36, v48
	v_add_f16_e32 v35, v28, v19
	v_mul_f16_sdwa v51, v24, v32 dst_sel:DWORD dst_unused:UNUSED_PAD src0_sel:DWORD src1_sel:WORD_1
	v_mul_f16_sdwa v56, v14, v38 dst_sel:DWORD dst_unused:UNUSED_PAD src0_sel:DWORD src1_sel:WORD_1
	s_waitcnt lgkmcnt(2)
	v_mul_f16_sdwa v57, v16, v38 dst_sel:DWORD dst_unused:UNUSED_PAD src0_sel:DWORD src1_sel:WORD_1
	v_fma_f16 v23, v23, v36, -v49
	v_fma_f16 v25, v25, v33, -v50
	v_fma_f16 v34, v6, v37, v52
	v_fma_f16 v15, v15, v37, -v53
	v_sub_f16_e32 v36, v20, v26
	v_add_f16_e32 v37, v27, v29
	v_mul_f16_e32 v48, 0x3b15, v35
	v_mul_f16_sdwa v54, v43, v32 dst_sel:DWORD dst_unused:UNUSED_PAD src0_sel:DWORD src1_sel:WORD_1
	v_mul_f16_sdwa v55, v22, v31 dst_sel:DWORD dst_unused:UNUSED_PAD src0_sel:DWORD src1_sel:WORD_1
	v_fma_f16 v33, v43, v32, v51
	v_fma_f16 v16, v16, v38, v56
	v_fma_f16 v14, v14, v38, -v57
	v_sub_f16_e32 v38, v23, v25
	v_mul_f16_e32 v49, 0x388b, v37
	v_fma_f16 v0, v36, s5, v48
	v_mul_f16_sdwa v58, v44, v31 dst_sel:DWORD dst_unused:UNUSED_PAD src0_sel:DWORD src1_sel:WORD_1
	s_waitcnt vmcnt(0)
	v_mul_f16_sdwa v59, v13, v42 dst_sel:DWORD dst_unused:UNUSED_PAD src0_sel:DWORD src1_sel:WORD_1
	v_mul_f16_sdwa v60, v12, v39 dst_sel:DWORD dst_unused:UNUSED_PAD src0_sel:DWORD src1_sel:WORD_1
	v_fma_f16 v24, v24, v32, -v54
	v_fma_f16 v32, v44, v31, v55
	v_add_f16_e32 v43, v33, v34
	v_fma_f16 v6, v38, s8, v49
	v_add_f16_e32 v0, v18, v0
	s_waitcnt lgkmcnt(1)
	v_mul_f16_sdwa v61, v17, v39 dst_sel:DWORD dst_unused:UNUSED_PAD src0_sel:DWORD src1_sel:WORD_1
	v_fma_f16 v22, v22, v31, -v58
	v_fma_f16 v31, v11, v42, v59
	v_fma_f16 v17, v17, v39, v60
	v_sub_f16_e32 v44, v15, v24
	v_add_f16_e32 v45, v32, v16
	v_mul_f16_e32 v50, 0x2fb7, v43
	v_add_f16_e32 v0, v0, v6
	v_mul_f16_sdwa v6, v11, v42 dst_sel:DWORD dst_unused:UNUSED_PAD src0_sel:DWORD src1_sel:WORD_1
	v_sub_f16_e32 v46, v14, v22
	v_add_f16_e32 v47, v31, v17
	v_mul_f16_e32 v51, 0xb5ac, v45
	v_fma_f16 v8, v44, s6, v50
	v_fma_f16 v12, v12, v39, -v61
	v_fma_f16 v11, v13, v42, -v6
	v_mul_f16_e32 v52, 0xb9fd, v47
	v_fma_f16 v53, v46, s7, v51
	v_add_f16_e32 v0, v0, v8
	v_sub_f16_e32 v13, v12, v11
	v_add_f16_e32 v0, v0, v53
	v_fma_f16 v6, v13, s12, v52
	v_add_f16_e32 v0, v0, v6
	v_mul_f16_sdwa v6, v10, v41 dst_sel:DWORD dst_unused:UNUSED_PAD src0_sel:DWORD src1_sel:WORD_1
	v_fma_f16 v39, v21, v41, v6
	v_mul_f16_sdwa v6, v9, v40 dst_sel:DWORD dst_unused:UNUSED_PAD src0_sel:DWORD src1_sel:WORD_1
	s_waitcnt lgkmcnt(0)
	v_fma_f16 v42, v30, v40, v6
	v_mul_f16_sdwa v6, v30, v40 dst_sel:DWORD dst_unused:UNUSED_PAD src0_sel:DWORD src1_sel:WORD_1
	v_fma_f16 v30, v9, v40, -v6
	v_mul_f16_sdwa v6, v21, v41 dst_sel:DWORD dst_unused:UNUSED_PAD src0_sel:DWORD src1_sel:WORD_1
	v_add_f16_e32 v53, v39, v42
	v_fma_f16 v10, v10, v41, -v6
	v_mul_f16_e32 v54, 0xbbc4, v53
	v_sub_f16_e32 v21, v30, v10
	v_sub_f16_e32 v41, v19, v28
	v_fma_f16 v6, v21, s16, v54
	v_add_f16_e32 v40, v26, v20
	v_mul_f16_e32 v55, 0xb770, v41
	v_sub_f16_e32 v57, v29, v27
	v_add_f16_e32 v0, v0, v6
	v_fma_f16 v6, v40, s0, v55
	v_add_f16_e32 v56, v25, v23
	v_mul_f16_e32 v58, 0xba95, v57
	v_sub_f16_e32 v60, v34, v33
	v_add_f16_e32 v6, v5, v6
	;; [unrolled: 5-line block ×5, first 2 shown]
	v_fma_f16 v8, v65, s4, v67
	v_add_f16_e32 v68, v10, v30
	v_mul_f16_e32 v70, 0xb3a8, v69
	v_add_f16_e32 v6, v6, v8
	v_fma_f16 v8, v68, s9, v70
	v_mul_f16_e32 v71, 0x388b, v35
	v_add_f16_e32 v6, v6, v8
	v_fma_f16 v8, v36, s8, v71
	;; [unrolled: 3-line block ×9, first 2 shown]
	v_add_f16_e32 v9, v9, v79
	v_mul_f16_e32 v79, 0xb3a8, v60
	v_fma_f16 v80, v59, s9, v79
	v_add_f16_e32 v9, v9, v80
	v_mul_f16_e32 v80, 0x394e, v63
	v_fma_f16 v81, v62, s4, v80
	v_add_f16_e32 v9, v9, v81
	v_mul_f16_e32 v81, 0x3bf1, v66
	v_fma_f16 v82, v65, s2, v81
	v_add_f16_e32 v9, v9, v82
	v_mul_f16_e32 v82, 0x3770, v69
	v_fma_f16 v83, v68, s0, v82
	v_add_f16_e32 v9, v9, v83
	v_mul_f16_e32 v83, 0x2fb7, v35
	v_fma_f16 v84, v36, s6, v83
	v_mul_f16_e32 v85, 0xbbc4, v37
	v_add_f16_e32 v84, v18, v84
	v_fma_f16 v86, v38, s16, v85
	v_add_f16_e32 v84, v84, v86
	v_mul_f16_e32 v86, 0xb5ac, v43
	v_fma_f16 v87, v44, s17, v86
	v_add_f16_e32 v84, v84, v87
	v_mul_f16_e32 v87, 0x3b15, v45
	v_fma_f16 v88, v46, s13, v87
	v_add_f16_e32 v84, v84, v88
	v_mul_f16_e32 v88, 0x388b, v47
	v_fma_f16 v89, v13, s8, v88
	v_add_f16_e32 v84, v84, v89
	v_mul_f16_e32 v89, 0xb9fd, v53
	v_fma_f16 v90, v21, s12, v89
	v_add_f16_e32 v84, v84, v90
	v_mul_f16_e32 v90, 0xbbf1, v41
	v_fma_f16 v91, v40, s2, v90
	v_mul_f16_e32 v92, 0xb3a8, v57
	v_add_f16_e32 v91, v5, v91
	v_fma_f16 v93, v56, s9, v92
	;; [unrolled: 18-line block ×6, first 2 shown]
	v_add_f16_e32 v119, v119, v121
	v_mul_f16_e32 v121, 0xba95, v60
	v_fma_f16 v122, v59, s1, v121
	v_add_f16_e32 v119, v119, v122
	v_mul_f16_e32 v122, 0x33a8, v63
	v_fma_f16 v123, v62, s9, v122
	;; [unrolled: 3-line block ×4, first 2 shown]
	v_mul_f16_e32 v35, 0xbbc4, v35
	v_add_f16_e32 v119, v119, v125
	v_fma_f16 v125, v36, s16, v35
	v_mul_f16_e32 v37, 0x3b15, v37
	v_fma_f16 v35, v36, s18, v35
	v_fma_f16 v126, v38, s13, v37
	v_mul_f16_e32 v43, 0xb9fd, v43
	v_add_f16_e32 v35, v18, v35
	v_fma_f16 v37, v38, s5, v37
	v_add_f16_e32 v125, v18, v125
	v_mul_f16_e32 v45, 0x388b, v45
	v_add_f16_e32 v35, v35, v37
	v_fma_f16 v37, v44, s15, v43
	v_add_f16_e32 v125, v125, v126
	v_fma_f16 v126, v44, s12, v43
	v_mul_f16_e32 v47, 0xb5ac, v47
	v_add_f16_e32 v35, v35, v37
	v_fma_f16 v37, v46, s8, v45
	v_add_f16_e32 v125, v125, v126
	v_fma_f16 v126, v46, s19, v45
	;; [unrolled: 5-line block ×4, first 2 shown]
	v_mul_f16_e32 v57, 0x3770, v57
	v_add_f16_e32 v35, v35, v37
	v_fma_f16 v37, v40, s9, -v41
	v_add_f16_e32 v125, v125, v126
	v_fma_f16 v126, v40, s9, v41
	v_mul_f16_e32 v60, 0xb94e, v60
	v_add_f16_e32 v37, v5, v37
	v_fma_f16 v41, v56, s0, -v57
	v_mul_f16_e32 v63, 0x3a95, v63
	v_add_f16_e32 v37, v37, v41
	v_fma_f16 v41, v59, s4, -v60
	;; [unrolled: 3-line block ×4, first 2 shown]
	v_add_f16_e32 v37, v37, v41
	v_fma_f16 v41, v68, s2, -v69
	v_add_f16_e32 v37, v37, v41
	v_fma_f16 v41, v36, s15, v111
	v_add_f16_e32 v41, v18, v41
	v_fma_f16 v43, v38, s6, v113
	;; [unrolled: 2-line block ×6, first 2 shown]
	v_add_f16_e32 v41, v41, v43
	v_fma_f16 v43, v40, s4, -v118
	v_add_f16_e32 v43, v5, v43
	v_fma_f16 v45, v56, s2, -v120
	;; [unrolled: 2-line block ×6, first 2 shown]
	v_add_f16_e32 v43, v43, v45
	v_fma_f16 v45, v36, s17, v97
	v_add_f16_e32 v45, v18, v45
	v_fma_f16 v47, v38, s12, v99
	;; [unrolled: 2-line block ×6, first 2 shown]
	v_add_f16_e32 v45, v45, v47
	v_fma_f16 v47, v40, s3, -v104
	v_add_f16_e32 v47, v5, v47
	v_fma_f16 v53, v56, s4, -v106
	;; [unrolled: 2-line block ×6, first 2 shown]
	v_add_f16_e32 v47, v47, v53
	v_fma_f16 v53, v36, s14, v83
	v_fma_f16 v127, v56, s0, v57
	v_add_f16_e32 v53, v18, v53
	v_fma_f16 v57, v38, s18, v85
	v_add_f16_e32 v53, v53, v57
	;; [unrolled: 2-line block ×6, first 2 shown]
	v_add_f16_e32 v53, v53, v57
	v_fma_f16 v57, v40, s2, -v90
	v_add_f16_e32 v126, v126, v127
	v_fma_f16 v127, v59, s4, v60
	v_add_f16_e32 v57, v5, v57
	v_fma_f16 v60, v56, s9, -v92
	v_add_f16_e32 v57, v57, v60
	v_fma_f16 v60, v59, s3, -v93
	;; [unrolled: 2-line block ×5, first 2 shown]
	v_add_f16_e32 v57, v57, v60
	v_fma_f16 v60, v36, s19, v71
	v_fma_f16 v36, v36, s13, v48
	v_add_f16_e32 v126, v126, v127
	v_fma_f16 v127, v62, s1, v63
	v_add_f16_e32 v60, v18, v60
	v_fma_f16 v63, v38, s17, v72
	v_add_f16_e32 v36, v18, v36
	v_fma_f16 v38, v38, s19, v49
	v_add_f16_e32 v60, v60, v63
	v_fma_f16 v63, v44, s18, v73
	v_add_f16_e32 v36, v36, v38
	v_fma_f16 v38, v44, s14, v50
	v_add_f16_e32 v60, v60, v63
	v_fma_f16 v63, v46, s12, v74
	v_add_f16_e32 v36, v36, v38
	v_fma_f16 v38, v46, s17, v51
	v_add_f16_e32 v60, v60, v63
	v_fma_f16 v63, v13, s6, v75
	v_add_f16_e32 v36, v36, v38
	v_fma_f16 v13, v13, s15, v52
	v_add_f16_e32 v60, v60, v63
	v_fma_f16 v63, v21, s5, v76
	v_add_f16_e32 v13, v36, v13
	v_fma_f16 v21, v21, s18, v54
	v_add_f16_e32 v60, v60, v63
	v_fma_f16 v63, v40, s1, -v77
	v_add_f16_e32 v13, v13, v21
	v_fma_f16 v21, v40, s0, -v55
	v_add_f16_e32 v63, v5, v63
	v_add_f16_e32 v21, v5, v21
	;; [unrolled: 1-line block ×14, first 2 shown]
	v_fma_f16 v127, v65, s3, v66
	v_fma_f16 v66, v56, s3, -v78
	v_add_f16_e32 v14, v26, v5
	v_add_f16_e32 v5, v18, v19
	;; [unrolled: 1-line block ×3, first 2 shown]
	v_fma_f16 v66, v59, s9, -v79
	v_add_f16_e32 v5, v5, v29
	v_add_f16_e32 v63, v63, v66
	v_fma_f16 v66, v62, s4, -v80
	v_add_f16_e32 v5, v5, v34
	v_add_f16_e32 v63, v63, v66
	;; [unrolled: 3-line block ×3, first 2 shown]
	v_fma_f16 v66, v68, s0, -v82
	v_fma_f16 v36, v56, s1, -v58
	v_add_f16_e32 v5, v5, v17
	v_mad_u64_u32 v[10:11], s[0:1], s20, v7, 0
	v_add_f16_e32 v5, v5, v42
	v_add_f16_e32 v5, v39, v5
	;; [unrolled: 1-line block ×4, first 2 shown]
	v_mov_b32_e32 v5, v11
	v_mad_u64_u32 v[11:12], s[0:1], s21, v7, v[5:6]
	v_mov_b32_e32 v12, s11
	v_addc_co_u32_e32 v4, vcc, v12, v4, vcc
	v_add_co_u32_e32 v12, vcc, v3, v1
	v_add_f16_e32 v5, v33, v15
	v_addc_co_u32_e32 v15, vcc, v4, v2, vcc
	v_lshlrev_b64 v[1:2], 2, v[10:11]
	v_add_u32_e32 v10, 26, v7
	v_mad_u64_u32 v[3:4], s[0:1], s20, v10, 0
	v_add_f16_e32 v5, v27, v5
	v_add_f16_e32 v5, v28, v5
	v_pack_b32_f16 v14, v14, v5
	v_mad_u64_u32 v[4:5], s[0:1], s21, v10, v[4:5]
	v_add_u32_e32 v5, 52, v7
	v_mad_u64_u32 v[10:11], s[0:1], s20, v5, 0
	v_add_co_u32_e32 v1, vcc, v12, v1
	v_add_f16_e32 v21, v21, v36
	v_fma_f16 v36, v59, s2, -v61
	v_addc_co_u32_e32 v2, vcc, v15, v2, vcc
	v_add_f16_e32 v21, v21, v36
	v_fma_f16 v36, v62, s3, -v64
	global_store_dword v[1:2], v14, off
	v_lshlrev_b64 v[1:2], 2, v[3:4]
	v_mov_b32_e32 v3, v11
	v_add_f16_e32 v21, v21, v36
	v_fma_f16 v36, v65, s4, -v67
	v_mad_u64_u32 v[3:4], s[0:1], s21, v5, v[3:4]
	v_add_f16_e32 v21, v21, v36
	v_fma_f16 v36, v68, s9, -v70
	v_add_f16_e32 v21, v21, v36
	v_add_co_u32_e32 v1, vcc, v12, v1
	v_addc_co_u32_e32 v2, vcc, v15, v2, vcc
	v_pack_b32_f16 v4, v21, v13
	v_add_u32_e32 v5, 0x4e, v7
	global_store_dword v[1:2], v4, off
	v_mov_b32_e32 v11, v3
	v_mad_u64_u32 v[3:4], s[0:1], s20, v5, 0
	v_lshlrev_b64 v[1:2], 2, v[10:11]
	v_add_f16_e32 v63, v63, v66
	v_mad_u64_u32 v[4:5], s[0:1], s21, v5, v[4:5]
	v_add_u32_e32 v5, 0x68, v7
	v_mad_u64_u32 v[10:11], s[0:1], s20, v5, 0
	v_add_co_u32_e32 v1, vcc, v12, v1
	v_addc_co_u32_e32 v2, vcc, v15, v2, vcc
	v_pack_b32_f16 v13, v63, v60
	global_store_dword v[1:2], v13, off
	v_lshlrev_b64 v[1:2], 2, v[3:4]
	v_mov_b32_e32 v3, v11
	v_mad_u64_u32 v[3:4], s[0:1], s21, v5, v[3:4]
	v_add_co_u32_e32 v1, vcc, v12, v1
	v_addc_co_u32_e32 v2, vcc, v15, v2, vcc
	v_pack_b32_f16 v4, v57, v53
	v_add_u32_e32 v5, 0x82, v7
	global_store_dword v[1:2], v4, off
	v_mov_b32_e32 v11, v3
	v_mad_u64_u32 v[3:4], s[0:1], s20, v5, 0
	v_lshlrev_b64 v[1:2], 2, v[10:11]
	v_pack_b32_f16 v13, v47, v45
	v_mad_u64_u32 v[4:5], s[0:1], s21, v5, v[4:5]
	v_add_u32_e32 v5, 0x9c, v7
	v_mad_u64_u32 v[10:11], s[0:1], s20, v5, 0
	v_add_co_u32_e32 v1, vcc, v12, v1
	v_addc_co_u32_e32 v2, vcc, v15, v2, vcc
	global_store_dword v[1:2], v13, off
	v_lshlrev_b64 v[1:2], 2, v[3:4]
	v_mov_b32_e32 v3, v11
	v_mad_u64_u32 v[3:4], s[0:1], s21, v5, v[3:4]
	v_add_co_u32_e32 v1, vcc, v12, v1
	v_addc_co_u32_e32 v2, vcc, v15, v2, vcc
	v_pack_b32_f16 v4, v43, v41
	v_add_u32_e32 v5, 0xb6, v7
	global_store_dword v[1:2], v4, off
	v_mov_b32_e32 v11, v3
	v_mad_u64_u32 v[3:4], s[0:1], s20, v5, 0
	v_lshlrev_b64 v[1:2], 2, v[10:11]
	v_pack_b32_f16 v13, v37, v35
	v_mad_u64_u32 v[4:5], s[0:1], s21, v5, v[4:5]
	v_add_u32_e32 v5, 0xd0, v7
	v_mad_u64_u32 v[10:11], s[0:1], s20, v5, 0
	v_add_co_u32_e32 v1, vcc, v12, v1
	v_addc_co_u32_e32 v2, vcc, v15, v2, vcc
	global_store_dword v[1:2], v13, off
	v_lshlrev_b64 v[1:2], 2, v[3:4]
	v_mov_b32_e32 v3, v11
	v_mad_u64_u32 v[3:4], s[0:1], s21, v5, v[3:4]
	v_add_f16_e32 v126, v126, v127
	v_fma_f16 v127, v68, s2, v69
	v_add_f16_e32 v126, v126, v127
	v_add_co_u32_e32 v1, vcc, v12, v1
	v_addc_co_u32_e32 v2, vcc, v15, v2, vcc
	v_pack_b32_f16 v4, v126, v125
	v_add_u32_e32 v5, 0xea, v7
	global_store_dword v[1:2], v4, off
	v_mov_b32_e32 v11, v3
	v_mad_u64_u32 v[3:4], s[0:1], s20, v5, 0
	v_lshlrev_b64 v[1:2], 2, v[10:11]
	v_pack_b32_f16 v13, v119, v112
	v_mad_u64_u32 v[4:5], s[0:1], s21, v5, v[4:5]
	v_add_u32_e32 v5, 0x104, v7
	v_mad_u64_u32 v[10:11], s[0:1], s20, v5, 0
	v_add_co_u32_e32 v1, vcc, v12, v1
	v_addc_co_u32_e32 v2, vcc, v15, v2, vcc
	global_store_dword v[1:2], v13, off
	v_lshlrev_b64 v[1:2], 2, v[3:4]
	v_mov_b32_e32 v3, v11
	v_mad_u64_u32 v[3:4], s[0:1], s21, v5, v[3:4]
	v_add_co_u32_e32 v1, vcc, v12, v1
	v_addc_co_u32_e32 v2, vcc, v15, v2, vcc
	v_pack_b32_f16 v4, v105, v98
	v_add_u32_e32 v5, 0x11e, v7
	global_store_dword v[1:2], v4, off
	v_mov_b32_e32 v11, v3
	v_mad_u64_u32 v[3:4], s[0:1], s20, v5, 0
	v_lshlrev_b64 v[1:2], 2, v[10:11]
	v_pack_b32_f16 v13, v91, v84
	v_mad_u64_u32 v[4:5], s[0:1], s21, v5, v[4:5]
	v_add_u32_e32 v5, 0x138, v7
	v_mad_u64_u32 v[10:11], s[0:1], s20, v5, 0
	v_add_co_u32_e32 v1, vcc, v12, v1
	v_addc_co_u32_e32 v2, vcc, v15, v2, vcc
	global_store_dword v[1:2], v13, off
	v_lshlrev_b64 v[1:2], 2, v[3:4]
	v_mov_b32_e32 v3, v11
	v_mad_u64_u32 v[3:4], s[0:1], s21, v5, v[3:4]
	v_add_co_u32_e32 v1, vcc, v12, v1
	v_addc_co_u32_e32 v2, vcc, v15, v2, vcc
	v_pack_b32_f16 v4, v9, v8
	v_mov_b32_e32 v11, v3
	global_store_dword v[1:2], v4, off
	v_lshlrev_b64 v[1:2], 2, v[10:11]
	v_pack_b32_f16 v0, v6, v0
	v_add_co_u32_e32 v1, vcc, v12, v1
	v_addc_co_u32_e32 v2, vcc, v15, v2, vcc
	global_store_dword v[1:2], v0, off
.LBB0_23:
	s_endpgm
	.section	.rodata,"a",@progbits
	.p2align	6, 0x0
	.amdhsa_kernel fft_rtc_fwd_len338_factors_13_2_13_wgs_52_tpt_26_halfLds_half_op_CI_CI_sbrr_dirReg
		.amdhsa_group_segment_fixed_size 0
		.amdhsa_private_segment_fixed_size 0
		.amdhsa_kernarg_size 104
		.amdhsa_user_sgpr_count 6
		.amdhsa_user_sgpr_private_segment_buffer 1
		.amdhsa_user_sgpr_dispatch_ptr 0
		.amdhsa_user_sgpr_queue_ptr 0
		.amdhsa_user_sgpr_kernarg_segment_ptr 1
		.amdhsa_user_sgpr_dispatch_id 0
		.amdhsa_user_sgpr_flat_scratch_init 0
		.amdhsa_user_sgpr_private_segment_size 0
		.amdhsa_uses_dynamic_stack 0
		.amdhsa_system_sgpr_private_segment_wavefront_offset 0
		.amdhsa_system_sgpr_workgroup_id_x 1
		.amdhsa_system_sgpr_workgroup_id_y 0
		.amdhsa_system_sgpr_workgroup_id_z 0
		.amdhsa_system_sgpr_workgroup_info 0
		.amdhsa_system_vgpr_workitem_id 0
		.amdhsa_next_free_vgpr 128
		.amdhsa_next_free_sgpr 49
		.amdhsa_reserve_vcc 1
		.amdhsa_reserve_flat_scratch 0
		.amdhsa_float_round_mode_32 0
		.amdhsa_float_round_mode_16_64 0
		.amdhsa_float_denorm_mode_32 3
		.amdhsa_float_denorm_mode_16_64 3
		.amdhsa_dx10_clamp 1
		.amdhsa_ieee_mode 1
		.amdhsa_fp16_overflow 0
		.amdhsa_exception_fp_ieee_invalid_op 0
		.amdhsa_exception_fp_denorm_src 0
		.amdhsa_exception_fp_ieee_div_zero 0
		.amdhsa_exception_fp_ieee_overflow 0
		.amdhsa_exception_fp_ieee_underflow 0
		.amdhsa_exception_fp_ieee_inexact 0
		.amdhsa_exception_int_div_zero 0
	.end_amdhsa_kernel
	.text
.Lfunc_end0:
	.size	fft_rtc_fwd_len338_factors_13_2_13_wgs_52_tpt_26_halfLds_half_op_CI_CI_sbrr_dirReg, .Lfunc_end0-fft_rtc_fwd_len338_factors_13_2_13_wgs_52_tpt_26_halfLds_half_op_CI_CI_sbrr_dirReg
                                        ; -- End function
	.section	.AMDGPU.csdata,"",@progbits
; Kernel info:
; codeLenInByte = 9984
; NumSgprs: 53
; NumVgprs: 128
; ScratchSize: 0
; MemoryBound: 0
; FloatMode: 240
; IeeeMode: 1
; LDSByteSize: 0 bytes/workgroup (compile time only)
; SGPRBlocks: 6
; VGPRBlocks: 31
; NumSGPRsForWavesPerEU: 53
; NumVGPRsForWavesPerEU: 128
; Occupancy: 2
; WaveLimiterHint : 1
; COMPUTE_PGM_RSRC2:SCRATCH_EN: 0
; COMPUTE_PGM_RSRC2:USER_SGPR: 6
; COMPUTE_PGM_RSRC2:TRAP_HANDLER: 0
; COMPUTE_PGM_RSRC2:TGID_X_EN: 1
; COMPUTE_PGM_RSRC2:TGID_Y_EN: 0
; COMPUTE_PGM_RSRC2:TGID_Z_EN: 0
; COMPUTE_PGM_RSRC2:TIDIG_COMP_CNT: 0
	.type	__hip_cuid_14f6fdf7ee3297ee,@object ; @__hip_cuid_14f6fdf7ee3297ee
	.section	.bss,"aw",@nobits
	.globl	__hip_cuid_14f6fdf7ee3297ee
__hip_cuid_14f6fdf7ee3297ee:
	.byte	0                               ; 0x0
	.size	__hip_cuid_14f6fdf7ee3297ee, 1

	.ident	"AMD clang version 19.0.0git (https://github.com/RadeonOpenCompute/llvm-project roc-6.4.0 25133 c7fe45cf4b819c5991fe208aaa96edf142730f1d)"
	.section	".note.GNU-stack","",@progbits
	.addrsig
	.addrsig_sym __hip_cuid_14f6fdf7ee3297ee
	.amdgpu_metadata
---
amdhsa.kernels:
  - .args:
      - .actual_access:  read_only
        .address_space:  global
        .offset:         0
        .size:           8
        .value_kind:     global_buffer
      - .offset:         8
        .size:           8
        .value_kind:     by_value
      - .actual_access:  read_only
        .address_space:  global
        .offset:         16
        .size:           8
        .value_kind:     global_buffer
      - .actual_access:  read_only
        .address_space:  global
        .offset:         24
        .size:           8
        .value_kind:     global_buffer
      - .actual_access:  read_only
        .address_space:  global
        .offset:         32
        .size:           8
        .value_kind:     global_buffer
      - .offset:         40
        .size:           8
        .value_kind:     by_value
      - .actual_access:  read_only
        .address_space:  global
        .offset:         48
        .size:           8
        .value_kind:     global_buffer
      - .actual_access:  read_only
        .address_space:  global
        .offset:         56
        .size:           8
        .value_kind:     global_buffer
      - .offset:         64
        .size:           4
        .value_kind:     by_value
      - .actual_access:  read_only
        .address_space:  global
        .offset:         72
        .size:           8
        .value_kind:     global_buffer
      - .actual_access:  read_only
        .address_space:  global
        .offset:         80
        .size:           8
        .value_kind:     global_buffer
      - .actual_access:  read_only
        .address_space:  global
        .offset:         88
        .size:           8
        .value_kind:     global_buffer
      - .actual_access:  write_only
        .address_space:  global
        .offset:         96
        .size:           8
        .value_kind:     global_buffer
    .group_segment_fixed_size: 0
    .kernarg_segment_align: 8
    .kernarg_segment_size: 104
    .language:       OpenCL C
    .language_version:
      - 2
      - 0
    .max_flat_workgroup_size: 52
    .name:           fft_rtc_fwd_len338_factors_13_2_13_wgs_52_tpt_26_halfLds_half_op_CI_CI_sbrr_dirReg
    .private_segment_fixed_size: 0
    .sgpr_count:     53
    .sgpr_spill_count: 0
    .symbol:         fft_rtc_fwd_len338_factors_13_2_13_wgs_52_tpt_26_halfLds_half_op_CI_CI_sbrr_dirReg.kd
    .uniform_work_group_size: 1
    .uses_dynamic_stack: false
    .vgpr_count:     128
    .vgpr_spill_count: 0
    .wavefront_size: 64
amdhsa.target:   amdgcn-amd-amdhsa--gfx906
amdhsa.version:
  - 1
  - 2
...

	.end_amdgpu_metadata
